;; amdgpu-corpus repo=ROCm/rocFFT kind=compiled arch=gfx906 opt=O3
	.text
	.amdgcn_target "amdgcn-amd-amdhsa--gfx906"
	.amdhsa_code_object_version 6
	.protected	fft_rtc_fwd_len700_factors_10_7_10_wgs_100_tpt_100_sp_op_CI_CI_unitstride_sbrr_R2C_dirReg ; -- Begin function fft_rtc_fwd_len700_factors_10_7_10_wgs_100_tpt_100_sp_op_CI_CI_unitstride_sbrr_R2C_dirReg
	.globl	fft_rtc_fwd_len700_factors_10_7_10_wgs_100_tpt_100_sp_op_CI_CI_unitstride_sbrr_R2C_dirReg
	.p2align	8
	.type	fft_rtc_fwd_len700_factors_10_7_10_wgs_100_tpt_100_sp_op_CI_CI_unitstride_sbrr_R2C_dirReg,@function
fft_rtc_fwd_len700_factors_10_7_10_wgs_100_tpt_100_sp_op_CI_CI_unitstride_sbrr_R2C_dirReg: ; @fft_rtc_fwd_len700_factors_10_7_10_wgs_100_tpt_100_sp_op_CI_CI_unitstride_sbrr_R2C_dirReg
; %bb.0:
	s_load_dwordx4 s[8:11], s[4:5], 0x58
	s_load_dwordx4 s[12:15], s[4:5], 0x0
	;; [unrolled: 1-line block ×3, first 2 shown]
	v_mul_u32_u24_e32 v1, 0x290, v0
	v_add_u32_sdwa v5, s6, v1 dst_sel:DWORD dst_unused:UNUSED_PAD src0_sel:DWORD src1_sel:WORD_1
	v_mov_b32_e32 v3, 0
	s_waitcnt lgkmcnt(0)
	v_cmp_lt_u64_e64 s[0:1], s[14:15], 2
	v_mov_b32_e32 v1, 0
	v_mov_b32_e32 v6, v3
	s_and_b64 vcc, exec, s[0:1]
	v_mov_b32_e32 v2, 0
	s_cbranch_vccnz .LBB0_8
; %bb.1:
	s_load_dwordx2 s[0:1], s[4:5], 0x10
	s_add_u32 s2, s18, 8
	s_addc_u32 s3, s19, 0
	s_add_u32 s6, s16, 8
	v_mov_b32_e32 v1, 0
	s_addc_u32 s7, s17, 0
	v_mov_b32_e32 v2, 0
	s_waitcnt lgkmcnt(0)
	s_add_u32 s20, s0, 8
	v_mov_b32_e32 v29, v2
	s_addc_u32 s21, s1, 0
	s_mov_b64 s[22:23], 1
	v_mov_b32_e32 v28, v1
.LBB0_2:                                ; =>This Inner Loop Header: Depth=1
	s_load_dwordx2 s[24:25], s[20:21], 0x0
                                        ; implicit-def: $vgpr30_vgpr31
	s_waitcnt lgkmcnt(0)
	v_or_b32_e32 v4, s25, v6
	v_cmp_ne_u64_e32 vcc, 0, v[3:4]
	s_and_saveexec_b64 s[0:1], vcc
	s_xor_b64 s[26:27], exec, s[0:1]
	s_cbranch_execz .LBB0_4
; %bb.3:                                ;   in Loop: Header=BB0_2 Depth=1
	v_cvt_f32_u32_e32 v4, s24
	v_cvt_f32_u32_e32 v7, s25
	s_sub_u32 s0, 0, s24
	s_subb_u32 s1, 0, s25
	v_mac_f32_e32 v4, 0x4f800000, v7
	v_rcp_f32_e32 v4, v4
	v_mul_f32_e32 v4, 0x5f7ffffc, v4
	v_mul_f32_e32 v7, 0x2f800000, v4
	v_trunc_f32_e32 v7, v7
	v_mac_f32_e32 v4, 0xcf800000, v7
	v_cvt_u32_f32_e32 v7, v7
	v_cvt_u32_f32_e32 v4, v4
	v_mul_lo_u32 v8, s0, v7
	v_mul_hi_u32 v9, s0, v4
	v_mul_lo_u32 v11, s1, v4
	v_mul_lo_u32 v10, s0, v4
	v_add_u32_e32 v8, v9, v8
	v_add_u32_e32 v8, v8, v11
	v_mul_hi_u32 v9, v4, v10
	v_mul_lo_u32 v11, v4, v8
	v_mul_hi_u32 v13, v4, v8
	v_mul_hi_u32 v12, v7, v10
	v_mul_lo_u32 v10, v7, v10
	v_mul_hi_u32 v14, v7, v8
	v_add_co_u32_e32 v9, vcc, v9, v11
	v_addc_co_u32_e32 v11, vcc, 0, v13, vcc
	v_mul_lo_u32 v8, v7, v8
	v_add_co_u32_e32 v9, vcc, v9, v10
	v_addc_co_u32_e32 v9, vcc, v11, v12, vcc
	v_addc_co_u32_e32 v10, vcc, 0, v14, vcc
	v_add_co_u32_e32 v8, vcc, v9, v8
	v_addc_co_u32_e32 v9, vcc, 0, v10, vcc
	v_add_co_u32_e32 v4, vcc, v4, v8
	v_addc_co_u32_e32 v7, vcc, v7, v9, vcc
	v_mul_lo_u32 v8, s0, v7
	v_mul_hi_u32 v9, s0, v4
	v_mul_lo_u32 v10, s1, v4
	v_mul_lo_u32 v11, s0, v4
	v_add_u32_e32 v8, v9, v8
	v_add_u32_e32 v8, v8, v10
	v_mul_lo_u32 v12, v4, v8
	v_mul_hi_u32 v13, v4, v11
	v_mul_hi_u32 v14, v4, v8
	v_mul_hi_u32 v10, v7, v11
	v_mul_lo_u32 v11, v7, v11
	v_mul_hi_u32 v9, v7, v8
	v_add_co_u32_e32 v12, vcc, v13, v12
	v_addc_co_u32_e32 v13, vcc, 0, v14, vcc
	v_mul_lo_u32 v8, v7, v8
	v_add_co_u32_e32 v11, vcc, v12, v11
	v_addc_co_u32_e32 v10, vcc, v13, v10, vcc
	v_addc_co_u32_e32 v9, vcc, 0, v9, vcc
	v_add_co_u32_e32 v8, vcc, v10, v8
	v_addc_co_u32_e32 v9, vcc, 0, v9, vcc
	v_add_co_u32_e32 v4, vcc, v4, v8
	v_addc_co_u32_e32 v9, vcc, v7, v9, vcc
	v_mad_u64_u32 v[7:8], s[0:1], v5, v9, 0
	v_mul_hi_u32 v10, v5, v4
	v_add_co_u32_e32 v11, vcc, v10, v7
	v_addc_co_u32_e32 v12, vcc, 0, v8, vcc
	v_mad_u64_u32 v[7:8], s[0:1], v6, v4, 0
	v_mad_u64_u32 v[9:10], s[0:1], v6, v9, 0
	v_add_co_u32_e32 v4, vcc, v11, v7
	v_addc_co_u32_e32 v4, vcc, v12, v8, vcc
	v_addc_co_u32_e32 v7, vcc, 0, v10, vcc
	v_add_co_u32_e32 v4, vcc, v4, v9
	v_addc_co_u32_e32 v9, vcc, 0, v7, vcc
	v_mul_lo_u32 v10, s25, v4
	v_mul_lo_u32 v11, s24, v9
	v_mad_u64_u32 v[7:8], s[0:1], s24, v4, 0
	v_add3_u32 v8, v8, v11, v10
	v_sub_u32_e32 v10, v6, v8
	v_mov_b32_e32 v11, s25
	v_sub_co_u32_e32 v7, vcc, v5, v7
	v_subb_co_u32_e64 v10, s[0:1], v10, v11, vcc
	v_subrev_co_u32_e64 v11, s[0:1], s24, v7
	v_subbrev_co_u32_e64 v10, s[0:1], 0, v10, s[0:1]
	v_cmp_le_u32_e64 s[0:1], s25, v10
	v_cndmask_b32_e64 v12, 0, -1, s[0:1]
	v_cmp_le_u32_e64 s[0:1], s24, v11
	v_cndmask_b32_e64 v11, 0, -1, s[0:1]
	v_cmp_eq_u32_e64 s[0:1], s25, v10
	v_cndmask_b32_e64 v10, v12, v11, s[0:1]
	v_add_co_u32_e64 v11, s[0:1], 2, v4
	v_addc_co_u32_e64 v12, s[0:1], 0, v9, s[0:1]
	v_add_co_u32_e64 v13, s[0:1], 1, v4
	v_addc_co_u32_e64 v14, s[0:1], 0, v9, s[0:1]
	v_subb_co_u32_e32 v8, vcc, v6, v8, vcc
	v_cmp_ne_u32_e64 s[0:1], 0, v10
	v_cmp_le_u32_e32 vcc, s25, v8
	v_cndmask_b32_e64 v10, v14, v12, s[0:1]
	v_cndmask_b32_e64 v12, 0, -1, vcc
	v_cmp_le_u32_e32 vcc, s24, v7
	v_cndmask_b32_e64 v7, 0, -1, vcc
	v_cmp_eq_u32_e32 vcc, s25, v8
	v_cndmask_b32_e32 v7, v12, v7, vcc
	v_cmp_ne_u32_e32 vcc, 0, v7
	v_cndmask_b32_e64 v7, v13, v11, s[0:1]
	v_cndmask_b32_e32 v31, v9, v10, vcc
	v_cndmask_b32_e32 v30, v4, v7, vcc
.LBB0_4:                                ;   in Loop: Header=BB0_2 Depth=1
	s_andn2_saveexec_b64 s[0:1], s[26:27]
	s_cbranch_execz .LBB0_6
; %bb.5:                                ;   in Loop: Header=BB0_2 Depth=1
	v_cvt_f32_u32_e32 v4, s24
	s_sub_i32 s26, 0, s24
	v_mov_b32_e32 v31, v3
	v_rcp_iflag_f32_e32 v4, v4
	v_mul_f32_e32 v4, 0x4f7ffffe, v4
	v_cvt_u32_f32_e32 v4, v4
	v_mul_lo_u32 v7, s26, v4
	v_mul_hi_u32 v7, v4, v7
	v_add_u32_e32 v4, v4, v7
	v_mul_hi_u32 v4, v5, v4
	v_mul_lo_u32 v7, v4, s24
	v_add_u32_e32 v8, 1, v4
	v_sub_u32_e32 v7, v5, v7
	v_subrev_u32_e32 v9, s24, v7
	v_cmp_le_u32_e32 vcc, s24, v7
	v_cndmask_b32_e32 v7, v7, v9, vcc
	v_cndmask_b32_e32 v4, v4, v8, vcc
	v_add_u32_e32 v8, 1, v4
	v_cmp_le_u32_e32 vcc, s24, v7
	v_cndmask_b32_e32 v30, v4, v8, vcc
.LBB0_6:                                ;   in Loop: Header=BB0_2 Depth=1
	s_or_b64 exec, exec, s[0:1]
	v_mul_lo_u32 v4, v31, s24
	v_mul_lo_u32 v9, v30, s25
	v_mad_u64_u32 v[7:8], s[0:1], v30, s24, 0
	s_load_dwordx2 s[0:1], s[6:7], 0x0
	s_load_dwordx2 s[24:25], s[2:3], 0x0
	v_add3_u32 v4, v8, v9, v4
	v_sub_co_u32_e32 v5, vcc, v5, v7
	v_subb_co_u32_e32 v4, vcc, v6, v4, vcc
	s_waitcnt lgkmcnt(0)
	v_mul_lo_u32 v6, s0, v4
	v_mul_lo_u32 v7, s1, v5
	v_mad_u64_u32 v[1:2], s[0:1], s0, v5, v[1:2]
	v_mul_lo_u32 v4, s24, v4
	v_mul_lo_u32 v8, s25, v5
	v_mad_u64_u32 v[28:29], s[0:1], s24, v5, v[28:29]
	s_add_u32 s22, s22, 1
	s_addc_u32 s23, s23, 0
	s_add_u32 s2, s2, 8
	v_add3_u32 v29, v8, v29, v4
	s_addc_u32 s3, s3, 0
	v_mov_b32_e32 v4, s14
	s_add_u32 s6, s6, 8
	v_mov_b32_e32 v5, s15
	s_addc_u32 s7, s7, 0
	v_cmp_ge_u64_e32 vcc, s[22:23], v[4:5]
	s_add_u32 s20, s20, 8
	v_add3_u32 v2, v7, v2, v6
	s_addc_u32 s21, s21, 0
	s_cbranch_vccnz .LBB0_9
; %bb.7:                                ;   in Loop: Header=BB0_2 Depth=1
	v_mov_b32_e32 v5, v30
	v_mov_b32_e32 v6, v31
	s_branch .LBB0_2
.LBB0_8:
	v_mov_b32_e32 v29, v2
	v_mov_b32_e32 v31, v6
	;; [unrolled: 1-line block ×4, first 2 shown]
.LBB0_9:
	s_load_dwordx2 s[4:5], s[4:5], 0x28
	s_lshl_b64 s[6:7], s[14:15], 3
	s_add_u32 s2, s18, s6
	s_addc_u32 s3, s19, s7
                                        ; implicit-def: $vgpr32
	s_waitcnt lgkmcnt(0)
	v_cmp_gt_u64_e64 s[0:1], s[4:5], v[30:31]
	v_cmp_le_u64_e32 vcc, s[4:5], v[30:31]
	s_and_saveexec_b64 s[4:5], vcc
	s_xor_b64 s[4:5], exec, s[4:5]
; %bb.10:
	s_mov_b32 s14, 0x28f5c29
	v_mul_hi_u32 v1, v0, s14
	v_mul_u32_u24_e32 v1, 0x64, v1
	v_sub_u32_e32 v32, v0, v1
                                        ; implicit-def: $vgpr0
                                        ; implicit-def: $vgpr1_vgpr2
; %bb.11:
	s_andn2_saveexec_b64 s[4:5], s[4:5]
	s_cbranch_execz .LBB0_13
; %bb.12:
	s_add_u32 s6, s16, s6
	s_addc_u32 s7, s17, s7
	s_load_dwordx2 s[6:7], s[6:7], 0x0
	s_mov_b32 s14, 0x28f5c29
	v_mul_hi_u32 v5, v0, s14
	s_waitcnt lgkmcnt(0)
	v_mul_lo_u32 v6, s7, v30
	v_mul_lo_u32 v7, s6, v31
	v_mad_u64_u32 v[3:4], s[6:7], s6, v30, 0
	v_mul_u32_u24_e32 v5, 0x64, v5
	v_sub_u32_e32 v32, v0, v5
	v_add3_u32 v4, v4, v7, v6
	v_lshlrev_b64 v[3:4], 3, v[3:4]
	v_mov_b32_e32 v0, s9
	v_add_co_u32_e32 v3, vcc, s8, v3
	v_addc_co_u32_e32 v4, vcc, v0, v4, vcc
	v_lshlrev_b64 v[0:1], 3, v[1:2]
	v_lshlrev_b32_e32 v18, 3, v32
	v_add_co_u32_e32 v0, vcc, v3, v0
	v_addc_co_u32_e32 v1, vcc, v4, v1, vcc
	v_add_co_u32_e32 v0, vcc, v0, v18
	v_addc_co_u32_e32 v1, vcc, 0, v1, vcc
	global_load_dwordx2 v[2:3], v[0:1], off
	global_load_dwordx2 v[4:5], v[0:1], off offset:800
	global_load_dwordx2 v[6:7], v[0:1], off offset:1600
	;; [unrolled: 1-line block ×3, first 2 shown]
	v_add_co_u32_e32 v10, vcc, 0x1000, v0
	v_addc_co_u32_e32 v11, vcc, 0, v1, vcc
	global_load_dwordx2 v[12:13], v[0:1], off offset:3200
	global_load_dwordx2 v[14:15], v[0:1], off offset:4000
	global_load_dwordx2 v[16:17], v[10:11], off offset:704
	v_add_u32_e32 v0, 0, v18
	v_add_u32_e32 v1, 0x400, v0
	s_waitcnt vmcnt(5)
	ds_write2_b64 v0, v[2:3], v[4:5] offset1:100
	s_waitcnt vmcnt(3)
	ds_write2_b64 v1, v[6:7], v[8:9] offset0:72 offset1:172
	v_add_u32_e32 v1, 0x800, v0
	s_waitcnt vmcnt(1)
	ds_write2_b64 v1, v[12:13], v[14:15] offset0:144 offset1:244
	s_waitcnt vmcnt(0)
	ds_write_b64 v0, v[16:17] offset:4800
.LBB0_13:
	s_or_b64 exec, exec, s[4:5]
	v_lshl_add_u32 v34, v32, 3, 0
	v_add_u32_e32 v0, 0x800, v34
	s_waitcnt lgkmcnt(0)
	s_barrier
	ds_read2_b64 v[8:11], v34 offset0:140 offset1:210
	ds_read2_b64 v[12:15], v0 offset0:24 offset1:94
	;; [unrolled: 1-line block ×3, first 2 shown]
	v_add_u32_e32 v1, 0x1000, v34
	ds_read2_b64 v[20:23], v1 offset0:48 offset1:118
	ds_read2_b64 v[24:27], v34 offset1:70
	s_mov_b32 s4, 0x3f737871
	s_waitcnt lgkmcnt(3)
	v_sub_f32_e32 v1, v8, v12
	s_waitcnt lgkmcnt(2)
	v_sub_f32_e32 v35, v13, v17
	s_waitcnt lgkmcnt(1)
	v_sub_f32_e32 v2, v20, v16
	v_add_f32_e32 v36, v1, v2
	v_sub_f32_e32 v1, v12, v8
	v_sub_f32_e32 v2, v16, v20
	v_add_f32_e32 v2, v1, v2
	v_add_f32_e32 v1, v8, v20
	s_waitcnt lgkmcnt(0)
	v_fma_f32 v33, -0.5, v1, v24
	v_mov_b32_e32 v1, v33
	v_fmac_f32_e32 v1, 0xbf737871, v35
	v_sub_f32_e32 v39, v9, v21
	v_fmac_f32_e32 v33, 0x3f737871, v35
	v_fmac_f32_e32 v1, 0x3f167918, v39
	v_fmac_f32_e32 v33, 0xbf167918, v39
	v_fmac_f32_e32 v1, 0x3e9e377a, v2
	v_fmac_f32_e32 v33, 0x3e9e377a, v2
	v_sub_f32_e32 v2, v9, v13
	v_sub_f32_e32 v3, v21, v17
	v_add_f32_e32 v40, v2, v3
	v_sub_f32_e32 v2, v13, v9
	v_sub_f32_e32 v3, v17, v21
	v_add_f32_e32 v2, v2, v3
	v_add_f32_e32 v3, v9, v21
	v_fma_f32 v37, -0.5, v3, v25
	v_sub_f32_e32 v41, v12, v16
	v_mov_b32_e32 v38, v37
	v_fmac_f32_e32 v38, 0x3f737871, v41
	v_sub_f32_e32 v42, v8, v20
	v_fmac_f32_e32 v37, 0xbf737871, v41
	v_fmac_f32_e32 v38, 0xbf167918, v42
	v_fmac_f32_e32 v37, 0x3f167918, v42
	v_fmac_f32_e32 v38, 0x3e9e377a, v2
	v_fmac_f32_e32 v37, 0x3e9e377a, v2
	v_sub_f32_e32 v2, v10, v14
	v_sub_f32_e32 v3, v22, v18
	v_add_f32_e32 v43, v2, v3
	v_sub_f32_e32 v2, v14, v10
	v_sub_f32_e32 v3, v18, v22
	v_add_f32_e32 v2, v2, v3
	v_add_f32_e32 v3, v10, v22
	v_fma_f32 v3, -0.5, v3, v26
	v_sub_f32_e32 v44, v15, v19
	;; [unrolled: 17-line block ×3, first 2 shown]
	v_mov_b32_e32 v6, v5
	v_fmac_f32_e32 v6, 0x3f737871, v51
	v_sub_f32_e32 v53, v10, v22
	v_fmac_f32_e32 v5, 0xbf737871, v51
	v_fmac_f32_e32 v6, 0xbf167918, v53
	;; [unrolled: 1-line block ×5, first 2 shown]
	v_mul_f32_e32 v2, 0x3e9e377a, v3
	s_mov_b32 s5, 0xbf737871
	v_fma_f32 v49, v5, s4, -v2
	v_mul_f32_e32 v2, 0x3e9e377a, v5
	v_fma_f32 v50, v3, s5, -v2
	v_add_f32_e32 v2, v14, v18
	v_fma_f32 v57, -0.5, v2, v26
	v_add_f32_e32 v3, v15, v19
	v_mov_b32_e32 v2, v57
	v_fma_f32 v59, -0.5, v3, v27
	v_fmac_f32_e32 v2, 0xbf737871, v46
	v_mov_b32_e32 v3, v59
	v_fmac_f32_e32 v2, 0xbf167918, v44
	v_fmac_f32_e32 v3, 0x3f737871, v53
	v_mul_f32_e32 v45, 0x3f737871, v6
	v_fmac_f32_e32 v2, 0x3e9e377a, v43
	v_fmac_f32_e32 v3, 0x3f167918, v51
	;; [unrolled: 1-line block ×3, first 2 shown]
	v_mul_f32_e32 v47, 0xbf737871, v4
	s_mov_b32 s4, 0x3f167918
	v_fmac_f32_e32 v3, 0x3e9e377a, v48
	v_mul_f32_e32 v4, 0x3f4f1bbd, v2
	s_mov_b32 s5, 0xbf167918
	v_fma_f32 v52, v3, s4, -v4
	v_mul_f32_e32 v3, 0x3f4f1bbd, v3
	v_fma_f32 v55, v2, s5, -v3
	v_add_f32_e32 v2, v12, v16
	v_fma_f32 v58, -0.5, v2, v24
	v_add_f32_e32 v2, v13, v17
	v_fma_f32 v60, -0.5, v2, v25
	v_mov_b32_e32 v54, v58
	v_mov_b32_e32 v56, v60
	v_fmac_f32_e32 v54, 0xbf737871, v39
	v_fmac_f32_e32 v56, 0x3f737871, v42
	v_fmac_f32_e32 v54, 0xbf167918, v35
	v_fmac_f32_e32 v56, 0x3f167918, v41
	v_fmac_f32_e32 v47, 0x3e9e377a, v6
	v_fmac_f32_e32 v54, 0x3e9e377a, v36
	v_fmac_f32_e32 v56, 0x3e9e377a, v40
	s_movk_i32 s4, 0x46
	s_mov_b32 s6, 0x3f4f1bbd
	v_sub_f32_e32 v4, v33, v49
	v_sub_f32_e32 v6, v54, v52
	;; [unrolled: 1-line block ×6, first 2 shown]
	v_cmp_gt_u32_e32 vcc, s4, v32
	s_barrier
	s_and_saveexec_b64 s[4:5], vcc
	s_cbranch_execz .LBB0_15
; %bb.14:
	v_mul_f32_e32 v61, 0x3e9e377a, v36
	v_mul_f32_e32 v36, 0x3f737871, v42
	;; [unrolled: 1-line block ×3, first 2 shown]
	v_sub_f32_e32 v36, v60, v36
	v_mul_f32_e32 v40, 0x3e9e377a, v40
	v_mul_f32_e32 v42, 0x3f737871, v46
	;; [unrolled: 1-line block ×3, first 2 shown]
	v_sub_f32_e32 v36, v36, v41
	v_mul_f32_e32 v51, 0x3f167918, v51
	v_add_f32_e32 v40, v40, v36
	v_sub_f32_e32 v36, v59, v46
	v_add_f32_e32 v9, v25, v9
	v_add_f32_e32 v8, v24, v8
	v_mul_f32_e32 v48, 0x3e9e377a, v48
	v_sub_f32_e32 v36, v36, v51
	v_add_f32_e32 v9, v9, v13
	v_add_f32_e32 v8, v8, v12
	v_mul_f32_e32 v44, 0x3f167918, v44
	v_add_f32_e32 v41, v48, v36
	v_add_f32_e32 v36, v57, v42
	;; [unrolled: 1-line block ×4, first 2 shown]
	v_mul_f32_e32 v39, 0x3f737871, v39
	v_mul_f32_e32 v43, 0x3e9e377a, v43
	v_add_f32_e32 v36, v44, v36
	v_add_f32_e32 v21, v9, v21
	;; [unrolled: 1-line block ×5, first 2 shown]
	v_mul_f32_e32 v35, 0x3f167918, v35
	v_add_f32_e32 v42, v43, v36
	v_add_f32_e32 v9, v9, v15
	;; [unrolled: 1-line block ×4, first 2 shown]
	v_mul_f32_e32 v36, 0x3f167918, v42
	v_add_f32_e32 v9, v9, v19
	v_add_f32_e32 v11, v35, v11
	v_mul_f32_e32 v25, 0x3f4f1bbd, v42
	v_add_f32_e32 v8, v8, v18
	v_fma_f32 v43, v41, s6, -v36
	v_add_f32_e32 v19, v9, v23
	v_add_f32_e32 v23, v61, v11
	v_fmac_f32_e32 v25, 0x3f167918, v41
	v_add_f32_e32 v18, v8, v22
	s_movk_i32 s6, 0x48
	v_sub_f32_e32 v9, v21, v19
	v_sub_f32_e32 v8, v20, v18
	v_add_f32_e32 v17, v40, v43
	v_add_f32_e32 v19, v21, v19
	;; [unrolled: 1-line block ×5, first 2 shown]
	v_mad_u32_u24 v1, v32, s6, v34
	v_sub_f32_e32 v36, v40, v43
	v_sub_f32_e32 v35, v23, v25
	v_add_f32_e32 v11, v56, v55
	v_add_f32_e32 v13, v37, v50
	;; [unrolled: 1-line block ×5, first 2 shown]
	ds_write2_b64 v1, v[18:19], v[16:17] offset1:1
	ds_write2_b64 v1, v[14:15], v[12:13] offset0:2 offset1:3
	ds_write2_b64 v1, v[10:11], v[8:9] offset0:4 offset1:5
	;; [unrolled: 1-line block ×4, first 2 shown]
.LBB0_15:
	s_or_b64 exec, exec, s[4:5]
	s_movk_i32 s4, 0xcd
	v_mul_lo_u16_sdwa v1, v32, s4 dst_sel:DWORD dst_unused:UNUSED_PAD src0_sel:BYTE_0 src1_sel:DWORD
	v_lshrrev_b16_e32 v33, 11, v1
	v_mul_lo_u16_e32 v1, 10, v33
	v_sub_u16_e32 v39, v32, v1
	v_mov_b32_e32 v1, 6
	v_mul_u32_u24_sdwa v1, v39, v1 dst_sel:DWORD dst_unused:UNUSED_PAD src0_sel:BYTE_0 src1_sel:DWORD
	v_lshlrev_b32_e32 v1, 3, v1
	s_load_dwordx2 s[2:3], s[2:3], 0x0
	s_waitcnt lgkmcnt(0)
	s_barrier
	global_load_dwordx4 v[8:11], v1, s[12:13]
	global_load_dwordx4 v[12:15], v1, s[12:13] offset:16
	global_load_dwordx4 v[16:19], v1, s[12:13] offset:32
	v_add_u32_e32 v35, 0x400, v34
	ds_read2_b64 v[20:23], v34 offset1:100
	ds_read2_b64 v[24:27], v0 offset0:144 offset1:244
	ds_read_b64 v[0:1], v34 offset:4800
	ds_read2_b64 v[35:38], v35 offset0:72 offset1:172
	s_mov_b32 s5, 0x3f3bfb3b
	s_mov_b32 s4, 0x3f5ff5aa
	;; [unrolled: 1-line block ×3, first 2 shown]
	s_waitcnt vmcnt(0) lgkmcnt(0)
	s_barrier
	v_mul_f32_e32 v40, v9, v23
	v_mul_f32_e32 v9, v9, v22
	;; [unrolled: 1-line block ×12, first 2 shown]
	v_fma_f32 v22, v8, v22, -v40
	v_fmac_f32_e32 v9, v8, v23
	v_fma_f32 v8, v10, v35, -v41
	v_fmac_f32_e32 v11, v10, v36
	;; [unrolled: 2-line block ×6, first 2 shown]
	v_add_f32_e32 v1, v22, v0
	v_add_f32_e32 v16, v9, v19
	v_sub_f32_e32 v9, v9, v19
	v_add_f32_e32 v18, v8, v14
	v_add_f32_e32 v19, v11, v17
	v_sub_f32_e32 v8, v8, v14
	v_sub_f32_e32 v11, v11, v17
	v_add_f32_e32 v14, v10, v12
	v_add_f32_e32 v17, v13, v15
	v_sub_f32_e32 v10, v12, v10
	;; [unrolled: 4-line block ×3, first 2 shown]
	v_sub_f32_e32 v22, v18, v1
	v_sub_f32_e32 v23, v19, v16
	;; [unrolled: 1-line block ×5, first 2 shown]
	v_add_f32_e32 v24, v10, v8
	v_add_f32_e32 v25, v12, v11
	;; [unrolled: 1-line block ×4, first 2 shown]
	v_sub_f32_e32 v16, v16, v17
	v_sub_f32_e32 v26, v10, v8
	;; [unrolled: 1-line block ×7, first 2 shown]
	v_add_f32_e32 v0, v24, v0
	v_add_f32_e32 v15, v25, v9
	v_mul_f32_e32 v24, 0x3d64c772, v19
	v_add_f32_e32 v8, v13, v20
	v_add_f32_e32 v9, v14, v21
	v_mul_f32_e32 v1, 0x3f4a47b2, v1
	v_mul_f32_e32 v16, 0x3f4a47b2, v16
	;; [unrolled: 1-line block ×4, first 2 shown]
	v_fma_f32 v20, v23, s5, -v24
	v_mov_b32_e32 v21, v8
	v_mov_b32_e32 v24, v9
	v_mul_f32_e32 v17, 0x3d64c772, v18
	v_mul_f32_e32 v27, 0x3f5ff5aa, v35
	v_fmac_f32_e32 v21, 0xbf955555, v13
	v_fmac_f32_e32 v24, 0xbf955555, v14
	v_fma_f32 v13, v22, s6, -v1
	v_fmac_f32_e32 v1, 0x3d64c772, v18
	v_fma_f32 v14, v23, s6, -v16
	;; [unrolled: 2-line block ×3, first 2 shown]
	v_fma_f32 v19, v11, s4, -v26
	s_mov_b32 s4, 0xbeae86e6
	v_mul_f32_e32 v36, 0x3f5ff5aa, v11
	v_fma_f32 v17, v22, s5, -v17
	v_fma_f32 v22, v10, s4, -v27
	v_fma_f32 v23, v12, s4, -v36
	v_add_f32_e32 v1, v1, v21
	v_add_f32_e32 v27, v16, v24
	;; [unrolled: 1-line block ×6, first 2 shown]
	v_fmac_f32_e32 v19, 0x3ee1c552, v15
	v_fmac_f32_e32 v22, 0x3ee1c552, v0
	;; [unrolled: 1-line block ×6, first 2 shown]
	v_sub_f32_e32 v13, v21, v22
	v_sub_f32_e32 v14, v16, v19
	v_add_f32_e32 v16, v19, v16
	v_add_f32_e32 v19, v22, v21
	v_mov_b32_e32 v21, 3
	v_fmac_f32_e32 v25, 0x3ee1c552, v0
	v_fmac_f32_e32 v26, 0x3ee1c552, v15
	v_add_f32_e32 v12, v23, v20
	v_add_f32_e32 v15, v18, v17
	v_sub_f32_e32 v17, v17, v18
	v_sub_f32_e32 v18, v20, v23
	v_mul_u32_u24_e32 v20, 0x230, v33
	v_lshlrev_b32_sdwa v21, v21, v39 dst_sel:DWORD dst_unused:UNUSED_PAD src0_sel:DWORD src1_sel:BYTE_0
	v_add_f32_e32 v10, v26, v1
	v_sub_f32_e32 v11, v27, v25
	v_sub_f32_e32 v0, v1, v26
	v_add_f32_e32 v1, v25, v27
	v_add3_u32 v20, 0, v20, v21
	ds_write2_b64 v20, v[8:9], v[10:11] offset1:10
	ds_write2_b64 v20, v[12:13], v[14:15] offset0:20 offset1:30
	ds_write2_b64 v20, v[16:17], v[18:19] offset0:40 offset1:50
	ds_write_b64 v20, v[0:1] offset:480
	s_waitcnt lgkmcnt(0)
	s_barrier
	s_and_saveexec_b64 s[4:5], vcc
	s_cbranch_execz .LBB0_17
; %bb.16:
	v_add_u32_e32 v0, 0x800, v34
	v_add_u32_e32 v4, 0x1000, v34
	ds_read2_b64 v[8:11], v34 offset1:70
	ds_read2_b64 v[12:15], v34 offset0:140 offset1:210
	ds_read2_b64 v[16:19], v0 offset0:24 offset1:94
	;; [unrolled: 1-line block ×4, first 2 shown]
.LBB0_17:
	s_or_b64 exec, exec, s[4:5]
	s_waitcnt lgkmcnt(0)
	s_barrier
	s_and_saveexec_b64 s[4:5], vcc
	s_cbranch_execz .LBB0_19
; %bb.18:
	v_add_u32_e32 v20, 0xffffffba, v32
	v_cndmask_b32_e32 v20, v20, v32, vcc
	v_mul_i32_i24_e32 v20, 9, v20
	v_mov_b32_e32 v21, 0
	v_lshlrev_b64 v[20:21], 3, v[20:21]
	v_mov_b32_e32 v22, s13
	v_add_co_u32_e32 v43, vcc, s12, v20
	v_addc_co_u32_e32 v44, vcc, v22, v21, vcc
	global_load_dwordx4 v[20:23], v[43:44], off offset:480
	global_load_dwordx4 v[24:27], v[43:44], off offset:496
	;; [unrolled: 1-line block ×4, first 2 shown]
	global_load_dwordx2 v[45:46], v[43:44], off offset:544
	s_mov_b32 s7, 0x3f167918
	s_mov_b32 s9, 0xbf167918
	;; [unrolled: 1-line block ×4, first 2 shown]
	s_waitcnt vmcnt(4)
	v_mul_f32_e32 v33, v12, v23
	s_waitcnt vmcnt(3)
	v_mul_f32_e32 v43, v16, v27
	v_mul_f32_e32 v23, v13, v23
	s_waitcnt vmcnt(1)
	v_mul_f32_e32 v47, v0, v42
	v_mul_f32_e32 v48, v15, v25
	;; [unrolled: 1-line block ×3, first 2 shown]
	s_waitcnt vmcnt(0)
	v_mul_f32_e32 v50, v7, v46
	v_mul_f32_e32 v51, v3, v36
	;; [unrolled: 1-line block ×6, first 2 shown]
	v_fmac_f32_e32 v43, v17, v26
	v_fmac_f32_e32 v47, v1, v41
	v_mul_f32_e32 v44, v4, v38
	v_mul_f32_e32 v27, v17, v27
	;; [unrolled: 1-line block ×5, first 2 shown]
	v_fmac_f32_e32 v33, v13, v22
	v_fma_f32 v12, v12, v22, -v23
	v_fma_f32 v14, v14, v24, -v48
	;; [unrolled: 1-line block ×5, first 2 shown]
	v_fmac_f32_e32 v25, v15, v24
	v_fmac_f32_e32 v46, v7, v45
	;; [unrolled: 1-line block ×4, first 2 shown]
	v_add_f32_e32 v3, v43, v47
	v_mul_f32_e32 v42, v1, v42
	v_fma_f32 v13, v16, v26, -v27
	v_fma_f32 v17, v4, v37, -v38
	;; [unrolled: 1-line block ×3, first 2 shown]
	v_fmac_f32_e32 v21, v11, v20
	v_add_f32_e32 v7, v18, v23
	v_sub_f32_e32 v19, v25, v40
	v_sub_f32_e32 v20, v46, v36
	v_add_f32_e32 v27, v40, v36
	v_fma_f32 v39, -0.5, v3, v9
	v_sub_f32_e32 v3, v18, v14
	v_sub_f32_e32 v45, v23, v22
	v_fmac_f32_e32 v44, v5, v37
	v_fma_f32 v16, v0, v41, -v42
	v_sub_f32_e32 v4, v12, v17
	v_fma_f32 v41, -0.5, v7, v10
	v_add_f32_e32 v7, v19, v20
	v_fma_f32 v19, -0.5, v27, v21
	v_mov_b32_e32 v27, v39
	v_add_f32_e32 v45, v3, v45
	v_add_f32_e32 v3, v14, v22
	v_sub_f32_e32 v0, v33, v43
	v_sub_f32_e32 v1, v44, v47
	;; [unrolled: 1-line block ×3, first 2 shown]
	v_fmac_f32_e32 v27, 0x3f737871, v4
	v_fma_f32 v48, -0.5, v3, v10
	v_sub_f32_e32 v3, v40, v25
	v_sub_f32_e32 v50, v36, v46
	v_fmac_f32_e32 v39, 0xbf737871, v4
	v_add_f32_e32 v0, v0, v1
	v_fmac_f32_e32 v27, 0x3f167918, v2
	v_add_f32_e32 v50, v3, v50
	v_add_f32_e32 v3, v25, v46
	v_fmac_f32_e32 v39, 0xbf167918, v2
	v_fmac_f32_e32 v27, 0x3e9e377a, v0
	v_fma_f32 v51, -0.5, v3, v21
	v_fmac_f32_e32 v39, 0x3e9e377a, v0
	v_add_f32_e32 v0, v9, v33
	v_sub_f32_e32 v5, v14, v18
	v_sub_f32_e32 v6, v22, v23
	;; [unrolled: 1-line block ×5, first 2 shown]
	v_mov_b32_e32 v52, v51
	v_add_f32_e32 v0, v0, v43
	v_sub_f32_e32 v26, v14, v22
	v_add_f32_e32 v6, v5, v6
	v_add_f32_e32 v5, v35, v37
	v_mov_b32_e32 v37, v19
	v_fmac_f32_e32 v52, 0xbf737871, v24
	v_fmac_f32_e32 v51, 0x3f737871, v24
	v_add_f32_e32 v0, v0, v47
	v_add_f32_e32 v38, v33, v44
	v_fmac_f32_e32 v37, 0x3f737871, v26
	v_fmac_f32_e32 v52, 0x3f167918, v26
	;; [unrolled: 1-line block ×4, first 2 shown]
	v_add_f32_e32 v26, v0, v44
	v_add_f32_e32 v0, v21, v25
	v_sub_f32_e32 v11, v25, v46
	v_fma_f32 v20, -0.5, v38, v9
	v_mov_b32_e32 v35, v41
	v_add_f32_e32 v0, v0, v40
	v_sub_f32_e32 v15, v40, v36
	v_mov_b32_e32 v38, v20
	v_fmac_f32_e32 v35, 0xbf737871, v11
	v_fmac_f32_e32 v41, 0x3f737871, v11
	v_add_f32_e32 v0, v0, v36
	v_fmac_f32_e32 v35, 0xbf167918, v15
	v_fmac_f32_e32 v38, 0xbf737871, v2
	;; [unrolled: 1-line block ×4, first 2 shown]
	v_add_f32_e32 v21, v0, v46
	v_sub_f32_e32 v0, v12, v13
	v_sub_f32_e32 v2, v17, v16
	v_fmac_f32_e32 v35, 0x3e9e377a, v6
	v_fmac_f32_e32 v38, 0x3f167918, v4
	;; [unrolled: 1-line block ×4, first 2 shown]
	v_add_f32_e32 v6, v0, v2
	v_sub_f32_e32 v2, v13, v12
	v_sub_f32_e32 v4, v16, v17
	v_add_f32_e32 v0, v13, v16
	v_add_f32_e32 v4, v2, v4
	;; [unrolled: 1-line block ×3, first 2 shown]
	v_fmac_f32_e32 v37, 0x3f167918, v24
	v_mov_b32_e32 v49, v48
	v_fmac_f32_e32 v19, 0xbf167918, v24
	v_fma_f32 v25, -0.5, v0, v8
	v_fma_f32 v36, -0.5, v2, v8
	v_add_f32_e32 v8, v8, v12
	v_fmac_f32_e32 v37, 0x3e9e377a, v7
	v_fmac_f32_e32 v49, 0x3f737871, v15
	;; [unrolled: 1-line block ×4, first 2 shown]
	v_add_f32_e32 v8, v8, v13
	v_mul_f32_e32 v1, 0x3f4f1bbd, v37
	v_fmac_f32_e32 v49, 0xbf167918, v11
	v_fmac_f32_e32 v48, 0x3f167918, v11
	v_sub_f32_e32 v11, v33, v44
	v_mul_f32_e32 v0, 0x3f4f1bbd, v35
	v_mul_f32_e32 v44, 0x3f167918, v19
	v_add_f32_e32 v8, v8, v16
	v_fma_f32 v42, v35, s9, -v1
	v_mul_f32_e32 v24, 0xbf167918, v41
	v_sub_f32_e32 v15, v43, v47
	v_fma_f32 v35, v37, s7, -v0
	v_mov_b32_e32 v37, v36
	v_fmac_f32_e32 v44, 0x3f4f1bbd, v41
	v_add_f32_e32 v41, v8, v17
	v_add_f32_e32 v8, v10, v14
	v_fmac_f32_e32 v49, 0x3e9e377a, v45
	v_mov_b32_e32 v33, v25
	v_fmac_f32_e32 v37, 0x3f737871, v15
	v_fmac_f32_e32 v25, 0x3f737871, v11
	v_add_f32_e32 v8, v8, v18
	v_fmac_f32_e32 v52, 0x3e9e377a, v50
	v_fmac_f32_e32 v51, 0x3e9e377a, v50
	;; [unrolled: 1-line block ×5, first 2 shown]
	v_mul_f32_e32 v2, 0x3e9e377a, v49
	v_fmac_f32_e32 v36, 0xbf737871, v15
	v_fmac_f32_e32 v25, 0x3f167918, v15
	v_add_f32_e32 v8, v8, v23
	v_mul_f32_e32 v3, 0x3e9e377a, v52
	v_mul_f32_e32 v45, 0xbf737871, v48
	v_fmac_f32_e32 v24, 0x3f4f1bbd, v19
	v_fmac_f32_e32 v33, 0xbf167918, v15
	;; [unrolled: 1-line block ×3, first 2 shown]
	v_fma_f32 v40, v52, s6, -v2
	v_fmac_f32_e32 v36, 0x3f167918, v11
	v_mul_f32_e32 v43, 0x3f737871, v51
	v_fmac_f32_e32 v25, 0x3e9e377a, v6
	v_add_f32_e32 v18, v8, v22
	v_fmac_f32_e32 v38, 0x3e9e377a, v5
	v_fma_f32 v53, v49, s8, -v3
	v_fmac_f32_e32 v20, 0x3e9e377a, v5
	v_fmac_f32_e32 v45, 0x3e9e377a, v51
	v_fmac_f32_e32 v33, 0x3e9e377a, v6
	v_fmac_f32_e32 v36, 0x3e9e377a, v4
	v_fmac_f32_e32 v43, 0x3e9e377a, v48
	v_sub_f32_e32 v8, v41, v18
	v_add_f32_e32 v17, v39, v24
	v_add_f32_e32 v19, v26, v21
	;; [unrolled: 1-line block ×5, first 2 shown]
	v_sub_f32_e32 v9, v26, v21
	v_sub_f32_e32 v4, v36, v43
	v_add_f32_e32 v11, v27, v42
	v_add_f32_e32 v13, v38, v53
	v_add_f32_e32 v15, v20, v45
	v_add_f32_e32 v10, v33, v35
	v_add_f32_e32 v14, v36, v43
	ds_write2_b64 v34, v[18:19], v[16:17] offset1:70
	ds_write2_b64 v34, v[14:15], v[12:13] offset0:140 offset1:210
	v_add_u32_e32 v12, 0x800, v34
	v_sub_f32_e32 v1, v27, v42
	v_sub_f32_e32 v3, v38, v53
	;; [unrolled: 1-line block ×7, first 2 shown]
	ds_write2_b64 v12, v[10:11], v[8:9] offset0:24 offset1:94
	ds_write2_b64 v12, v[6:7], v[4:5] offset0:164 offset1:234
	v_add_u32_e32 v4, 0x1000, v34
	ds_write2_b64 v4, v[2:3], v[0:1] offset0:48 offset1:118
.LBB0_19:
	s_or_b64 exec, exec, s[4:5]
	s_waitcnt lgkmcnt(0)
	s_barrier
	ds_read_b64 v[2:3], v34
	s_add_u32 s6, s12, 0x1590
	v_lshlrev_b32_e32 v0, 3, v32
	s_addc_u32 s7, s13, 0
	v_sub_u32_e32 v6, 0, v0
	v_cmp_ne_u32_e32 vcc, 0, v32
                                        ; implicit-def: $vgpr1
                                        ; implicit-def: $vgpr7
                                        ; implicit-def: $vgpr4_vgpr5
	s_and_saveexec_b64 s[4:5], vcc
	s_xor_b64 s[4:5], exec, s[4:5]
	s_cbranch_execz .LBB0_21
; %bb.20:
	v_mov_b32_e32 v33, 0
	v_lshlrev_b64 v[0:1], 3, v[32:33]
	v_mov_b32_e32 v4, s7
	v_add_co_u32_e32 v0, vcc, s6, v0
	v_addc_co_u32_e32 v1, vcc, v4, v1, vcc
	global_load_dwordx2 v[0:1], v[0:1], off
	ds_read_b64 v[4:5], v6 offset:5600
	s_waitcnt lgkmcnt(0)
	v_add_f32_e32 v8, v4, v2
	v_sub_f32_e32 v2, v2, v4
	v_add_f32_e32 v7, v5, v3
	v_sub_f32_e32 v3, v3, v5
	v_mul_f32_e32 v2, 0.5, v2
	v_mul_f32_e32 v4, 0.5, v7
	;; [unrolled: 1-line block ×3, first 2 shown]
	s_waitcnt vmcnt(0)
	v_mul_f32_e32 v5, v1, v2
	v_fma_f32 v7, v4, v1, v3
	v_fma_f32 v1, v4, v1, -v3
	v_fma_f32 v3, 0.5, v8, v5
	v_fma_f32 v5, v8, 0.5, -v5
	v_fma_f32 v7, -v0, v2, v7
	v_fma_f32 v1, -v0, v2, v1
	v_fmac_f32_e32 v3, v0, v4
	v_fma_f32 v0, -v0, v4, v5
	v_mov_b32_e32 v4, v32
	ds_write_b32 v34, v3
	v_mov_b32_e32 v5, v33
                                        ; implicit-def: $vgpr2_vgpr3
.LBB0_21:
	s_andn2_saveexec_b64 s[4:5], s[4:5]
	s_cbranch_execz .LBB0_23
; %bb.22:
	v_mov_b32_e32 v7, 0
	ds_read_b32 v1, v7 offset:2804
	v_mov_b32_e32 v4, 0
	s_waitcnt lgkmcnt(1)
	v_add_f32_e32 v8, v2, v3
	v_sub_f32_e32 v0, v2, v3
	v_mov_b32_e32 v5, 0
	s_waitcnt lgkmcnt(0)
	v_xor_b32_e32 v1, 0x80000000, v1
	ds_write_b32 v7, v1 offset:2804
	v_mov_b32_e32 v1, v7
	ds_write_b32 v34, v8
.LBB0_23:
	s_or_b64 exec, exec, s[4:5]
	s_waitcnt lgkmcnt(0)
	v_lshlrev_b64 v[2:3], 3, v[4:5]
	v_mov_b32_e32 v4, s7
	v_add_co_u32_e32 v2, vcc, s6, v2
	v_addc_co_u32_e32 v3, vcc, v4, v3, vcc
	global_load_dwordx2 v[4:5], v[2:3], off offset:800
	global_load_dwordx2 v[8:9], v[2:3], off offset:1600
	ds_write_b32 v34, v7 offset:4
	ds_write_b64 v6, v[0:1] offset:5600
	ds_read_b64 v[0:1], v34 offset:800
	ds_read_b64 v[10:11], v6 offset:4800
	v_cmp_gt_u32_e32 vcc, 50, v32
	s_waitcnt lgkmcnt(0)
	v_add_f32_e32 v7, v0, v10
	v_sub_f32_e32 v0, v0, v10
	v_add_f32_e32 v12, v1, v11
	v_sub_f32_e32 v1, v1, v11
	v_mul_f32_e32 v11, 0.5, v0
	v_mul_f32_e32 v10, 0.5, v12
	;; [unrolled: 1-line block ×3, first 2 shown]
	s_waitcnt vmcnt(1)
	v_mul_f32_e32 v12, v5, v11
	v_fma_f32 v1, v10, v5, v0
	v_fma_f32 v5, v10, v5, -v0
	v_fma_f32 v0, 0.5, v7, v12
	v_fma_f32 v1, -v4, v11, v1
	v_fma_f32 v7, v7, 0.5, -v12
	v_fmac_f32_e32 v0, v4, v10
	v_fma_f32 v5, -v4, v11, v5
	v_fma_f32 v4, -v4, v10, v7
	ds_write_b64 v34, v[0:1] offset:800
	ds_write_b64 v6, v[4:5] offset:4800
	ds_read_b64 v[0:1], v34 offset:1600
	ds_read_b64 v[4:5], v6 offset:4000
	s_waitcnt lgkmcnt(0)
	v_add_f32_e32 v7, v0, v4
	v_sub_f32_e32 v0, v0, v4
	v_add_f32_e32 v10, v1, v5
	v_sub_f32_e32 v1, v1, v5
	v_mul_f32_e32 v5, 0.5, v0
	v_mul_f32_e32 v4, 0.5, v10
	;; [unrolled: 1-line block ×3, first 2 shown]
	s_waitcnt vmcnt(0)
	v_mul_f32_e32 v10, v9, v5
	v_fma_f32 v1, v4, v9, v0
	v_fma_f32 v9, v4, v9, -v0
	v_fma_f32 v0, 0.5, v7, v10
	v_fma_f32 v1, -v8, v5, v1
	v_fma_f32 v7, v7, 0.5, -v10
	v_fmac_f32_e32 v0, v8, v4
	v_fma_f32 v5, -v8, v5, v9
	v_fma_f32 v4, -v8, v4, v7
	ds_write_b64 v34, v[0:1] offset:1600
	ds_write_b64 v6, v[4:5] offset:4000
	s_and_saveexec_b64 s[4:5], vcc
	s_cbranch_execz .LBB0_25
; %bb.24:
	global_load_dwordx2 v[0:1], v[2:3], off offset:2400
	ds_read_b64 v[2:3], v34 offset:2400
	ds_read_b64 v[4:5], v6 offset:3200
	s_waitcnt lgkmcnt(0)
	v_add_f32_e32 v7, v2, v4
	v_sub_f32_e32 v2, v2, v4
	v_add_f32_e32 v8, v3, v5
	v_sub_f32_e32 v3, v3, v5
	v_mul_f32_e32 v4, 0.5, v2
	v_mul_f32_e32 v5, 0.5, v8
	;; [unrolled: 1-line block ×3, first 2 shown]
	s_waitcnt vmcnt(0)
	v_mul_f32_e32 v3, v1, v4
	v_fma_f32 v8, v5, v1, v2
	v_fma_f32 v9, v5, v1, -v2
	v_fma_f32 v1, 0.5, v7, v3
	v_fma_f32 v2, -v0, v4, v8
	v_fma_f32 v3, v7, 0.5, -v3
	v_fmac_f32_e32 v1, v0, v5
	v_fma_f32 v4, -v0, v4, v9
	v_fma_f32 v3, -v0, v5, v3
	ds_write_b64 v34, v[1:2] offset:2400
	ds_write_b64 v6, v[3:4] offset:3200
.LBB0_25:
	s_or_b64 exec, exec, s[4:5]
	s_waitcnt lgkmcnt(0)
	s_barrier
	s_and_saveexec_b64 s[4:5], s[0:1]
	s_cbranch_execz .LBB0_28
; %bb.26:
	v_mul_lo_u32 v2, s3, v30
	v_mul_lo_u32 v3, s2, v31
	v_mad_u64_u32 v[0:1], s[0:1], s2, v30, 0
	v_mov_b32_e32 v6, s11
	v_lshl_add_u32 v8, v32, 3, 0
	v_add3_u32 v1, v1, v3, v2
	v_lshlrev_b64 v[0:1], 3, v[0:1]
	v_mov_b32_e32 v33, 0
	v_add_co_u32_e32 v0, vcc, s10, v0
	v_addc_co_u32_e32 v9, vcc, v6, v1, vcc
	v_lshlrev_b64 v[6:7], 3, v[28:29]
	ds_read2_b64 v[2:5], v8 offset1:100
	v_add_co_u32_e32 v1, vcc, v0, v6
	v_addc_co_u32_e32 v0, vcc, v9, v7, vcc
	v_lshlrev_b64 v[6:7], 3, v[32:33]
	s_movk_i32 s0, 0x63
	v_add_co_u32_e32 v6, vcc, v1, v6
	v_addc_co_u32_e32 v7, vcc, v0, v7, vcc
	s_waitcnt lgkmcnt(0)
	global_store_dwordx2 v[6:7], v[2:3], off
	v_add_u32_e32 v2, 0x64, v32
	v_mov_b32_e32 v3, v33
	v_lshlrev_b64 v[2:3], 3, v[2:3]
	v_add_u32_e32 v6, 0xc8, v32
	v_add_co_u32_e32 v2, vcc, v1, v2
	v_addc_co_u32_e32 v3, vcc, v0, v3, vcc
	global_store_dwordx2 v[2:3], v[4:5], off
	v_add_u32_e32 v2, 0x400, v8
	v_mov_b32_e32 v7, v33
	ds_read2_b64 v[2:5], v2 offset0:72 offset1:172
	v_lshlrev_b64 v[6:7], 3, v[6:7]
	v_add_co_u32_e32 v6, vcc, v1, v6
	v_addc_co_u32_e32 v7, vcc, v0, v7, vcc
	s_waitcnt lgkmcnt(0)
	global_store_dwordx2 v[6:7], v[2:3], off
	v_add_u32_e32 v2, 0x12c, v32
	v_mov_b32_e32 v3, v33
	v_lshlrev_b64 v[2:3], 3, v[2:3]
	v_add_u32_e32 v6, 0x190, v32
	v_add_co_u32_e32 v2, vcc, v1, v2
	v_addc_co_u32_e32 v3, vcc, v0, v3, vcc
	global_store_dwordx2 v[2:3], v[4:5], off
	v_add_u32_e32 v2, 0x800, v8
	v_mov_b32_e32 v7, v33
	ds_read2_b64 v[2:5], v2 offset0:144 offset1:244
	v_lshlrev_b64 v[6:7], 3, v[6:7]
	v_add_co_u32_e32 v6, vcc, v1, v6
	v_addc_co_u32_e32 v7, vcc, v0, v7, vcc
	s_waitcnt lgkmcnt(0)
	global_store_dwordx2 v[6:7], v[2:3], off
	v_add_u32_e32 v2, 0x1f4, v32
	v_mov_b32_e32 v3, v33
	v_lshlrev_b64 v[2:3], 3, v[2:3]
	v_add_co_u32_e32 v2, vcc, v1, v2
	v_addc_co_u32_e32 v3, vcc, v0, v3, vcc
	global_store_dwordx2 v[2:3], v[4:5], off
	v_add_u32_e32 v2, 0x258, v32
	v_mov_b32_e32 v3, v33
	ds_read_b64 v[4:5], v8 offset:4800
	v_lshlrev_b64 v[2:3], 3, v[2:3]
	v_add_co_u32_e32 v2, vcc, v1, v2
	v_addc_co_u32_e32 v3, vcc, v0, v3, vcc
	v_cmp_eq_u32_e32 vcc, s0, v32
	s_waitcnt lgkmcnt(0)
	global_store_dwordx2 v[2:3], v[4:5], off
	s_and_b64 exec, exec, vcc
	s_cbranch_execz .LBB0_28
; %bb.27:
	ds_read_b64 v[2:3], v33 offset:5600
	v_add_co_u32_e32 v4, vcc, 0x1000, v1
	v_addc_co_u32_e32 v5, vcc, 0, v0, vcc
	s_waitcnt lgkmcnt(0)
	global_store_dwordx2 v[4:5], v[2:3], off offset:1504
.LBB0_28:
	s_endpgm
	.section	.rodata,"a",@progbits
	.p2align	6, 0x0
	.amdhsa_kernel fft_rtc_fwd_len700_factors_10_7_10_wgs_100_tpt_100_sp_op_CI_CI_unitstride_sbrr_R2C_dirReg
		.amdhsa_group_segment_fixed_size 0
		.amdhsa_private_segment_fixed_size 0
		.amdhsa_kernarg_size 104
		.amdhsa_user_sgpr_count 6
		.amdhsa_user_sgpr_private_segment_buffer 1
		.amdhsa_user_sgpr_dispatch_ptr 0
		.amdhsa_user_sgpr_queue_ptr 0
		.amdhsa_user_sgpr_kernarg_segment_ptr 1
		.amdhsa_user_sgpr_dispatch_id 0
		.amdhsa_user_sgpr_flat_scratch_init 0
		.amdhsa_user_sgpr_private_segment_size 0
		.amdhsa_uses_dynamic_stack 0
		.amdhsa_system_sgpr_private_segment_wavefront_offset 0
		.amdhsa_system_sgpr_workgroup_id_x 1
		.amdhsa_system_sgpr_workgroup_id_y 0
		.amdhsa_system_sgpr_workgroup_id_z 0
		.amdhsa_system_sgpr_workgroup_info 0
		.amdhsa_system_vgpr_workitem_id 0
		.amdhsa_next_free_vgpr 62
		.amdhsa_next_free_sgpr 28
		.amdhsa_reserve_vcc 1
		.amdhsa_reserve_flat_scratch 0
		.amdhsa_float_round_mode_32 0
		.amdhsa_float_round_mode_16_64 0
		.amdhsa_float_denorm_mode_32 3
		.amdhsa_float_denorm_mode_16_64 3
		.amdhsa_dx10_clamp 1
		.amdhsa_ieee_mode 1
		.amdhsa_fp16_overflow 0
		.amdhsa_exception_fp_ieee_invalid_op 0
		.amdhsa_exception_fp_denorm_src 0
		.amdhsa_exception_fp_ieee_div_zero 0
		.amdhsa_exception_fp_ieee_overflow 0
		.amdhsa_exception_fp_ieee_underflow 0
		.amdhsa_exception_fp_ieee_inexact 0
		.amdhsa_exception_int_div_zero 0
	.end_amdhsa_kernel
	.text
.Lfunc_end0:
	.size	fft_rtc_fwd_len700_factors_10_7_10_wgs_100_tpt_100_sp_op_CI_CI_unitstride_sbrr_R2C_dirReg, .Lfunc_end0-fft_rtc_fwd_len700_factors_10_7_10_wgs_100_tpt_100_sp_op_CI_CI_unitstride_sbrr_R2C_dirReg
                                        ; -- End function
	.section	.AMDGPU.csdata,"",@progbits
; Kernel info:
; codeLenInByte = 5960
; NumSgprs: 32
; NumVgprs: 62
; ScratchSize: 0
; MemoryBound: 0
; FloatMode: 240
; IeeeMode: 1
; LDSByteSize: 0 bytes/workgroup (compile time only)
; SGPRBlocks: 3
; VGPRBlocks: 15
; NumSGPRsForWavesPerEU: 32
; NumVGPRsForWavesPerEU: 62
; Occupancy: 4
; WaveLimiterHint : 1
; COMPUTE_PGM_RSRC2:SCRATCH_EN: 0
; COMPUTE_PGM_RSRC2:USER_SGPR: 6
; COMPUTE_PGM_RSRC2:TRAP_HANDLER: 0
; COMPUTE_PGM_RSRC2:TGID_X_EN: 1
; COMPUTE_PGM_RSRC2:TGID_Y_EN: 0
; COMPUTE_PGM_RSRC2:TGID_Z_EN: 0
; COMPUTE_PGM_RSRC2:TIDIG_COMP_CNT: 0
	.type	__hip_cuid_899d1348543c5829,@object ; @__hip_cuid_899d1348543c5829
	.section	.bss,"aw",@nobits
	.globl	__hip_cuid_899d1348543c5829
__hip_cuid_899d1348543c5829:
	.byte	0                               ; 0x0
	.size	__hip_cuid_899d1348543c5829, 1

	.ident	"AMD clang version 19.0.0git (https://github.com/RadeonOpenCompute/llvm-project roc-6.4.0 25133 c7fe45cf4b819c5991fe208aaa96edf142730f1d)"
	.section	".note.GNU-stack","",@progbits
	.addrsig
	.addrsig_sym __hip_cuid_899d1348543c5829
	.amdgpu_metadata
---
amdhsa.kernels:
  - .args:
      - .actual_access:  read_only
        .address_space:  global
        .offset:         0
        .size:           8
        .value_kind:     global_buffer
      - .offset:         8
        .size:           8
        .value_kind:     by_value
      - .actual_access:  read_only
        .address_space:  global
        .offset:         16
        .size:           8
        .value_kind:     global_buffer
      - .actual_access:  read_only
        .address_space:  global
        .offset:         24
        .size:           8
        .value_kind:     global_buffer
      - .actual_access:  read_only
        .address_space:  global
        .offset:         32
        .size:           8
        .value_kind:     global_buffer
      - .offset:         40
        .size:           8
        .value_kind:     by_value
      - .actual_access:  read_only
        .address_space:  global
        .offset:         48
        .size:           8
        .value_kind:     global_buffer
      - .actual_access:  read_only
        .address_space:  global
        .offset:         56
        .size:           8
        .value_kind:     global_buffer
      - .offset:         64
        .size:           4
        .value_kind:     by_value
      - .actual_access:  read_only
        .address_space:  global
        .offset:         72
        .size:           8
        .value_kind:     global_buffer
      - .actual_access:  read_only
        .address_space:  global
        .offset:         80
        .size:           8
        .value_kind:     global_buffer
      - .actual_access:  read_only
        .address_space:  global
        .offset:         88
        .size:           8
        .value_kind:     global_buffer
      - .actual_access:  write_only
        .address_space:  global
        .offset:         96
        .size:           8
        .value_kind:     global_buffer
    .group_segment_fixed_size: 0
    .kernarg_segment_align: 8
    .kernarg_segment_size: 104
    .language:       OpenCL C
    .language_version:
      - 2
      - 0
    .max_flat_workgroup_size: 100
    .name:           fft_rtc_fwd_len700_factors_10_7_10_wgs_100_tpt_100_sp_op_CI_CI_unitstride_sbrr_R2C_dirReg
    .private_segment_fixed_size: 0
    .sgpr_count:     32
    .sgpr_spill_count: 0
    .symbol:         fft_rtc_fwd_len700_factors_10_7_10_wgs_100_tpt_100_sp_op_CI_CI_unitstride_sbrr_R2C_dirReg.kd
    .uniform_work_group_size: 1
    .uses_dynamic_stack: false
    .vgpr_count:     62
    .vgpr_spill_count: 0
    .wavefront_size: 64
amdhsa.target:   amdgcn-amd-amdhsa--gfx906
amdhsa.version:
  - 1
  - 2
...

	.end_amdgpu_metadata
